;; amdgpu-corpus repo=ROCm/MIOpen kind=compiled arch=gfx90a opt=O3
	.text
	.amdgcn_target "amdgcn-amd-amdhsa--gfx90a"
	.amdhsa_code_object_version 6
	.protected	gridwise_generic_reduce_2_prepare ; -- Begin function gridwise_generic_reduce_2_prepare
	.globl	gridwise_generic_reduce_2_prepare
	.p2align	8
	.type	gridwise_generic_reduce_2_prepare,@function
gridwise_generic_reduce_2_prepare:      ; @gridwise_generic_reduce_2_prepare
; %bb.0:
	v_cmp_eq_u32_e32 vcc, 0, v0
	s_and_saveexec_b64 s[0:1], vcc
	s_cbranch_execz .LBB0_2
; %bb.1:
	s_getpc_b64 s[2:3]
	s_add_u32 s2, s2, __const.gridwise_generic_reduce_2_prepare.dstDesc@rel32@lo+8
	s_addc_u32 s3, s3, __const.gridwise_generic_reduce_2_prepare.dstDesc@rel32@hi+16
	s_load_dword s6, s[4:5], 0x4
	s_load_dwordx2 s[0:1], s[4:5], 0x8
	v_mov_b32_e32 v6, 0
	s_load_dwordx2 s[2:3], s[2:3], 0x0
	v_mov_b32_e32 v0, 1
	s_waitcnt lgkmcnt(0)
	v_mov_b32_e32 v1, s6
	v_mov_b32_e32 v2, s6
	;; [unrolled: 1-line block ×4, first 2 shown]
	global_store_dwordx3 v6, v[0:2], s[0:1]
	global_store_dwordx2 v6, v[4:5], s[0:1] offset:16
	v_mov_b32_e32 v1, s2
	v_mov_b32_e32 v2, s3
	;; [unrolled: 1-line block ×3, first 2 shown]
	global_store_dwordx4 v6, v[0:3], s[0:1] offset:2048
.LBB0_2:
	s_endpgm
	.section	.rodata,"a",@progbits
	.p2align	6, 0x0
	.amdhsa_kernel gridwise_generic_reduce_2_prepare
		.amdhsa_group_segment_fixed_size 0
		.amdhsa_private_segment_fixed_size 0
		.amdhsa_kernarg_size 16
		.amdhsa_user_sgpr_count 6
		.amdhsa_user_sgpr_private_segment_buffer 1
		.amdhsa_user_sgpr_dispatch_ptr 0
		.amdhsa_user_sgpr_queue_ptr 0
		.amdhsa_user_sgpr_kernarg_segment_ptr 1
		.amdhsa_user_sgpr_dispatch_id 0
		.amdhsa_user_sgpr_flat_scratch_init 0
		.amdhsa_user_sgpr_kernarg_preload_length 0
		.amdhsa_user_sgpr_kernarg_preload_offset 0
		.amdhsa_user_sgpr_private_segment_size 0
		.amdhsa_uses_dynamic_stack 0
		.amdhsa_system_sgpr_private_segment_wavefront_offset 0
		.amdhsa_system_sgpr_workgroup_id_x 1
		.amdhsa_system_sgpr_workgroup_id_y 0
		.amdhsa_system_sgpr_workgroup_id_z 0
		.amdhsa_system_sgpr_workgroup_info 0
		.amdhsa_system_vgpr_workitem_id 0
		.amdhsa_next_free_vgpr 7
		.amdhsa_next_free_sgpr 7
		.amdhsa_accum_offset 8
		.amdhsa_reserve_vcc 1
		.amdhsa_reserve_flat_scratch 0
		.amdhsa_float_round_mode_32 0
		.amdhsa_float_round_mode_16_64 0
		.amdhsa_float_denorm_mode_32 3
		.amdhsa_float_denorm_mode_16_64 3
		.amdhsa_dx10_clamp 1
		.amdhsa_ieee_mode 1
		.amdhsa_fp16_overflow 0
		.amdhsa_tg_split 0
		.amdhsa_exception_fp_ieee_invalid_op 0
		.amdhsa_exception_fp_denorm_src 0
		.amdhsa_exception_fp_ieee_div_zero 0
		.amdhsa_exception_fp_ieee_overflow 0
		.amdhsa_exception_fp_ieee_underflow 0
		.amdhsa_exception_fp_ieee_inexact 0
		.amdhsa_exception_int_div_zero 0
	.end_amdhsa_kernel
	.text
.Lfunc_end0:
	.size	gridwise_generic_reduce_2_prepare, .Lfunc_end0-gridwise_generic_reduce_2_prepare
                                        ; -- End function
	.section	.AMDGPU.csdata,"",@progbits
; Kernel info:
; codeLenInByte = 124
; NumSgprs: 11
; NumVgprs: 7
; NumAgprs: 0
; TotalNumVgprs: 7
; ScratchSize: 0
; MemoryBound: 0
; FloatMode: 240
; IeeeMode: 1
; LDSByteSize: 0 bytes/workgroup (compile time only)
; SGPRBlocks: 1
; VGPRBlocks: 0
; NumSGPRsForWavesPerEU: 11
; NumVGPRsForWavesPerEU: 7
; AccumOffset: 8
; Occupancy: 8
; WaveLimiterHint : 1
; COMPUTE_PGM_RSRC2:SCRATCH_EN: 0
; COMPUTE_PGM_RSRC2:USER_SGPR: 6
; COMPUTE_PGM_RSRC2:TRAP_HANDLER: 0
; COMPUTE_PGM_RSRC2:TGID_X_EN: 1
; COMPUTE_PGM_RSRC2:TGID_Y_EN: 0
; COMPUTE_PGM_RSRC2:TGID_Z_EN: 0
; COMPUTE_PGM_RSRC2:TIDIG_COMP_CNT: 0
; COMPUTE_PGM_RSRC3_GFX90A:ACCUM_OFFSET: 1
; COMPUTE_PGM_RSRC3_GFX90A:TG_SPLIT: 0
	.text
	.protected	gridwise_generic_reduce_2 ; -- Begin function gridwise_generic_reduce_2
	.globl	gridwise_generic_reduce_2
	.p2align	8
	.type	gridwise_generic_reduce_2,@function
gridwise_generic_reduce_2:              ; @gridwise_generic_reduce_2
; %bb.0:
	s_load_dwordx4 s[0:3], s[4:5], 0x18
	v_lshl_add_u32 v1, s6, 8, v0
	v_ashrrev_i32_e32 v0, 31, v1
	v_lshrrev_b32_e32 v0, 26, v0
	v_add_u32_e32 v2, v1, v0
	s_waitcnt lgkmcnt(0)
	s_load_dword s13, s[2:3], 0x4
	s_load_dword s7, s[2:3], 0x804
	;; [unrolled: 1-line block ×3, first 2 shown]
	v_ashrrev_i32_e32 v0, 6, v2
	v_and_b32_e32 v2, 0xffffffc0, v2
	s_waitcnt lgkmcnt(0)
	s_cmp_lt_i32 s13, 1
	v_sub_u32_e32 v1, v1, v2
	s_cbranch_scc1 .LBB1_5
; %bb.1:
	s_load_dword s6, s[2:3], 0x14
	s_load_dword s14, s[2:3], 0x8
	v_mbcnt_lo_u32_b32 v4, -1, 0
	s_add_u32 s8, s2, 0x1000
	v_lshlrev_b32_e32 v3, 3, v1
	v_mbcnt_hi_u32_b32 v4, -1, v4
	s_waitcnt lgkmcnt(0)
	v_mul_lo_u32 v2, s14, v0
	s_mov_b32 s11, 0x20000
	s_addc_u32 s9, s3, 0
	s_lshl_b32 s10, s6, 2
	v_lshl_add_u32 v3, v2, 2, v3
	s_mov_b32 s2, 0
	v_mov_b32_e32 v2, 0
	v_and_b32_e32 v5, 63, v4
.LBB1_2:                                ; =>This Inner Loop Header: Depth=1
	buffer_load_dwordx2 v[6:7], v3, s[8:11], 0 offen
	v_cmp_gt_u32_e32 vcc, 32, v5
	v_cndmask_b32_e64 v10, 0, 1, vcc
	v_lshlrev_b32_e32 v10, 5, v10
	v_add_lshl_u32 v10, v10, v4, 2
	v_cmp_gt_u32_e32 vcc, 48, v5
	v_cndmask_b32_e64 v12, 0, 1, vcc
	v_cmp_gt_u32_e32 vcc, 56, v5
	v_cndmask_b32_e64 v14, 0, 1, vcc
	v_lshlrev_b32_e32 v14, 3, v14
	v_add_lshl_u32 v14, v14, v4, 2
	v_cmp_gt_u32_e32 vcc, 60, v5
	v_cndmask_b32_e64 v16, 0, 1, vcc
	v_mov_b32_e32 v8, 1
	v_cmp_gt_u32_e32 vcc, 62, v5
	v_cndmask_b32_e64 v18, 0, 1, vcc
	;;#ASMSTART
	;;#ASMEND
	v_lshlrev_b32_e32 v8, 1, v18
	v_add_lshl_u32 v8, v8, v4, 2
	v_cmp_ne_u32_e32 vcc, 63, v5
	s_addk_i32 s2, 0x80
	v_mov_b32_e32 v9, 1
	v_mov_b32_e32 v11, 1
	;; [unrolled: 1-line block ×6, first 2 shown]
	v_add_u32_e32 v3, 0x200, v3
	s_cmp_ge_i32 s2, s13
	;;#ASMSTART
	;;#ASMEND
	;;#ASMSTART
	;;#ASMEND
	;; [unrolled: 2-line block ×6, first 2 shown]
	s_waitcnt vmcnt(0)
	v_add_f32_e32 v6, 0, v6
	v_add_f32_e32 v6, v6, v7
	ds_bpermute_b32 v7, v10, v6
	v_lshlrev_b32_e32 v10, 4, v12
	v_add_lshl_u32 v10, v10, v4, 2
	v_mov_b32_e32 v12, 1
	;;#ASMSTART
	;;#ASMEND
	s_waitcnt lgkmcnt(0)
	v_add_f32_e32 v6, v6, v7
	ds_bpermute_b32 v7, v10, v6
	v_addc_co_u32_e32 v10, vcc, 0, v4, vcc
	s_waitcnt lgkmcnt(0)
	v_add_f32_e32 v6, v6, v7
	ds_bpermute_b32 v7, v14, v6
	v_lshlrev_b32_e32 v14, 2, v16
	v_add_lshl_u32 v14, v14, v4, 2
	s_waitcnt lgkmcnt(0)
	v_add_f32_e32 v6, v6, v7
	ds_bpermute_b32 v7, v14, v6
	s_waitcnt lgkmcnt(0)
	v_add_f32_e32 v6, v6, v7
	ds_bpermute_b32 v7, v8, v6
	v_lshlrev_b32_e32 v8, 2, v10
	s_waitcnt lgkmcnt(0)
	v_add_f32_e32 v6, v6, v7
	ds_bpermute_b32 v7, v8, v6
	s_waitcnt lgkmcnt(0)
	v_add_f32_e32 v6, v6, v7
	v_add_f32_e32 v2, v2, v6
	s_cbranch_scc0 .LBB1_2
; %bb.3:
	v_cmp_eq_u32_e32 vcc, 0, v1
	s_and_saveexec_b64 s[2:3], vcc
	s_cbranch_execnz .LBB1_6
.LBB1_4:
	s_endpgm
.LBB1_5:
	v_mov_b32_e32 v2, 0
	v_cmp_eq_u32_e32 vcc, 0, v1
	s_and_saveexec_b64 s[2:3], vcc
	s_cbranch_execz .LBB1_4
.LBB1_6:
	s_load_dword s3, s[4:5], 0x4
	s_load_dword s6, s[4:5], 0x10
	v_mul_lo_u32 v0, v0, s7
	s_lshl_b32 s2, s12, 2
	v_lshlrev_b32_e32 v0, 2, v0
	s_waitcnt lgkmcnt(0)
	v_mul_f32_e32 v1, s3, v2
	v_cmp_eq_f32_e64 s[4:5], s6, 0
	v_cmp_eq_f32_e64 vcc, s3, 1.0
	v_cndmask_b32_e32 v1, v1, v2, vcc
	s_mov_b32 s3, 0x20000
	s_and_b64 vcc, exec, s[4:5]
	s_cbranch_vccnz .LBB1_8
; %bb.7:
	buffer_load_dword v2, v0, s[0:3], 0 offen
	s_waitcnt vmcnt(0)
	v_fmac_f32_e32 v1, s6, v2
.LBB1_8:
	buffer_store_dword v1, v0, s[0:3], 0 offen
	s_endpgm
	.section	.rodata,"a",@progbits
	.p2align	6, 0x0
	.amdhsa_kernel gridwise_generic_reduce_2
		.amdhsa_group_segment_fixed_size 0
		.amdhsa_private_segment_fixed_size 0
		.amdhsa_kernarg_size 56
		.amdhsa_user_sgpr_count 6
		.amdhsa_user_sgpr_private_segment_buffer 1
		.amdhsa_user_sgpr_dispatch_ptr 0
		.amdhsa_user_sgpr_queue_ptr 0
		.amdhsa_user_sgpr_kernarg_segment_ptr 1
		.amdhsa_user_sgpr_dispatch_id 0
		.amdhsa_user_sgpr_flat_scratch_init 0
		.amdhsa_user_sgpr_kernarg_preload_length 0
		.amdhsa_user_sgpr_kernarg_preload_offset 0
		.amdhsa_user_sgpr_private_segment_size 0
		.amdhsa_uses_dynamic_stack 0
		.amdhsa_system_sgpr_private_segment_wavefront_offset 0
		.amdhsa_system_sgpr_workgroup_id_x 1
		.amdhsa_system_sgpr_workgroup_id_y 0
		.amdhsa_system_sgpr_workgroup_id_z 0
		.amdhsa_system_sgpr_workgroup_info 0
		.amdhsa_system_vgpr_workitem_id 0
		.amdhsa_next_free_vgpr 20
		.amdhsa_next_free_sgpr 15
		.amdhsa_accum_offset 20
		.amdhsa_reserve_vcc 1
		.amdhsa_reserve_flat_scratch 0
		.amdhsa_float_round_mode_32 0
		.amdhsa_float_round_mode_16_64 0
		.amdhsa_float_denorm_mode_32 3
		.amdhsa_float_denorm_mode_16_64 3
		.amdhsa_dx10_clamp 1
		.amdhsa_ieee_mode 1
		.amdhsa_fp16_overflow 0
		.amdhsa_tg_split 0
		.amdhsa_exception_fp_ieee_invalid_op 0
		.amdhsa_exception_fp_denorm_src 0
		.amdhsa_exception_fp_ieee_div_zero 0
		.amdhsa_exception_fp_ieee_overflow 0
		.amdhsa_exception_fp_ieee_underflow 0
		.amdhsa_exception_fp_ieee_inexact 0
		.amdhsa_exception_int_div_zero 0
	.end_amdhsa_kernel
	.text
.Lfunc_end1:
	.size	gridwise_generic_reduce_2, .Lfunc_end1-gridwise_generic_reduce_2
                                        ; -- End function
	.section	.AMDGPU.csdata,"",@progbits
; Kernel info:
; codeLenInByte = 616
; NumSgprs: 19
; NumVgprs: 20
; NumAgprs: 0
; TotalNumVgprs: 20
; ScratchSize: 0
; MemoryBound: 0
; FloatMode: 240
; IeeeMode: 1
; LDSByteSize: 0 bytes/workgroup (compile time only)
; SGPRBlocks: 2
; VGPRBlocks: 2
; NumSGPRsForWavesPerEU: 19
; NumVGPRsForWavesPerEU: 20
; AccumOffset: 20
; Occupancy: 8
; WaveLimiterHint : 1
; COMPUTE_PGM_RSRC2:SCRATCH_EN: 0
; COMPUTE_PGM_RSRC2:USER_SGPR: 6
; COMPUTE_PGM_RSRC2:TRAP_HANDLER: 0
; COMPUTE_PGM_RSRC2:TGID_X_EN: 1
; COMPUTE_PGM_RSRC2:TGID_Y_EN: 0
; COMPUTE_PGM_RSRC2:TGID_Z_EN: 0
; COMPUTE_PGM_RSRC2:TIDIG_COMP_CNT: 0
; COMPUTE_PGM_RSRC3_GFX90A:ACCUM_OFFSET: 4
; COMPUTE_PGM_RSRC3_GFX90A:TG_SPLIT: 0
	.text
	.p2alignl 6, 3212836864
	.fill 256, 4, 3212836864
	.type	__const.gridwise_generic_reduce_2_prepare.dstDesc,@object ; @__const.gridwise_generic_reduce_2_prepare.dstDesc
	.section	.rodata.cst16,"aM",@progbits,16
	.p2align	2, 0x0
__const.gridwise_generic_reduce_2_prepare.dstDesc:
	.long	1                               ; 0x1
	.long	1                               ; 0x1
	;; [unrolled: 1-line block ×4, first 2 shown]
	.size	__const.gridwise_generic_reduce_2_prepare.dstDesc, 16

	.type	__hip_cuid_f03f3f60cd7af2fa,@object ; @__hip_cuid_f03f3f60cd7af2fa
	.section	.bss,"aw",@nobits
	.globl	__hip_cuid_f03f3f60cd7af2fa
__hip_cuid_f03f3f60cd7af2fa:
	.byte	0                               ; 0x0
	.size	__hip_cuid_f03f3f60cd7af2fa, 1

	.ident	"AMD clang version 19.0.0git (https://github.com/RadeonOpenCompute/llvm-project roc-6.4.0 25133 c7fe45cf4b819c5991fe208aaa96edf142730f1d)"
	.section	".note.GNU-stack","",@progbits
	.addrsig
	.addrsig_sym __hip_cuid_f03f3f60cd7af2fa
	.amdgpu_metadata
---
amdhsa.kernels:
  - .agpr_count:     0
    .args:
      - .offset:         0
        .size:           4
        .value_kind:     by_value
      - .offset:         4
        .size:           4
        .value_kind:     by_value
      - .actual_access:  write_only
        .address_space:  global
        .offset:         8
        .size:           8
        .value_kind:     global_buffer
    .group_segment_fixed_size: 0
    .kernarg_segment_align: 8
    .kernarg_segment_size: 16
    .language:       OpenCL C
    .language_version:
      - 2
      - 0
    .max_flat_workgroup_size: 1024
    .name:           gridwise_generic_reduce_2_prepare
    .private_segment_fixed_size: 0
    .sgpr_count:     11
    .sgpr_spill_count: 0
    .symbol:         gridwise_generic_reduce_2_prepare.kd
    .uniform_work_group_size: 1
    .uses_dynamic_stack: false
    .vgpr_count:     7
    .vgpr_spill_count: 0
    .wavefront_size: 64
  - .agpr_count:     0
    .args:
      - .offset:         0
        .size:           4
        .value_kind:     by_value
      - .offset:         4
        .size:           4
        .value_kind:     by_value
      - .actual_access:  read_only
        .address_space:  global
        .offset:         8
        .size:           8
        .value_kind:     global_buffer
      - .offset:         16
        .size:           4
        .value_kind:     by_value
      - .address_space:  global
        .offset:         24
        .size:           8
        .value_kind:     global_buffer
      - .address_space:  constant
        .offset:         32
        .size:           8
        .value_kind:     global_buffer
      - .offset:         40
        .size:           8
        .value_kind:     by_value
      - .actual_access:  read_only
        .address_space:  global
        .offset:         48
        .size:           8
        .value_kind:     global_buffer
    .group_segment_fixed_size: 0
    .kernarg_segment_align: 8
    .kernarg_segment_size: 56
    .language:       OpenCL C
    .language_version:
      - 2
      - 0
    .max_flat_workgroup_size: 1024
    .name:           gridwise_generic_reduce_2
    .private_segment_fixed_size: 0
    .sgpr_count:     19
    .sgpr_spill_count: 0
    .symbol:         gridwise_generic_reduce_2.kd
    .uniform_work_group_size: 1
    .uses_dynamic_stack: false
    .vgpr_count:     20
    .vgpr_spill_count: 0
    .wavefront_size: 64
amdhsa.target:   amdgcn-amd-amdhsa--gfx90a
amdhsa.version:
  - 1
  - 2
...

	.end_amdgpu_metadata
